;; amdgpu-corpus repo=ROCm/rocFFT kind=compiled arch=gfx950 opt=O3
	.text
	.amdgcn_target "amdgcn-amd-amdhsa--gfx950"
	.amdhsa_code_object_version 6
	.protected	fft_rtc_back_len96_factors_6_16_wgs_128_tpt_16_dp_op_CI_CI_unitstride_sbrr_C2R_dirReg ; -- Begin function fft_rtc_back_len96_factors_6_16_wgs_128_tpt_16_dp_op_CI_CI_unitstride_sbrr_C2R_dirReg
	.globl	fft_rtc_back_len96_factors_6_16_wgs_128_tpt_16_dp_op_CI_CI_unitstride_sbrr_C2R_dirReg
	.p2align	8
	.type	fft_rtc_back_len96_factors_6_16_wgs_128_tpt_16_dp_op_CI_CI_unitstride_sbrr_C2R_dirReg,@function
fft_rtc_back_len96_factors_6_16_wgs_128_tpt_16_dp_op_CI_CI_unitstride_sbrr_C2R_dirReg: ; @fft_rtc_back_len96_factors_6_16_wgs_128_tpt_16_dp_op_CI_CI_unitstride_sbrr_C2R_dirReg
; %bb.0:
	s_load_dwordx4 s[4:7], s[0:1], 0x58
	s_load_dwordx4 s[8:11], s[0:1], 0x0
	;; [unrolled: 1-line block ×3, first 2 shown]
	v_lshrrev_b32_e32 v1, 4, v0
	v_lshl_or_b32 v6, s2, 3, v1
	v_mov_b32_e32 v4, 0
	s_waitcnt lgkmcnt(0)
	v_cmp_lt_u64_e64 s[2:3], s[10:11], 2
	v_mov_b32_e32 v7, v4
	s_and_b64 vcc, exec, s[2:3]
	v_mov_b64_e32 v[2:3], 0
	s_cbranch_vccnz .LBB0_8
; %bb.1:
	s_load_dwordx2 s[2:3], s[0:1], 0x10
	s_add_u32 s16, s14, 8
	s_addc_u32 s17, s15, 0
	s_add_u32 s18, s12, 8
	s_addc_u32 s19, s13, 0
	s_waitcnt lgkmcnt(0)
	s_add_u32 s20, s2, 8
	v_mov_b64_e32 v[2:3], 0
	s_addc_u32 s21, s3, 0
	s_mov_b64 s[22:23], 1
	v_mov_b64_e32 v[68:69], v[2:3]
.LBB0_2:                                ; =>This Inner Loop Header: Depth=1
	s_load_dwordx2 s[24:25], s[20:21], 0x0
                                        ; implicit-def: $vgpr70_vgpr71
	s_waitcnt lgkmcnt(0)
	v_or_b32_e32 v5, s25, v7
	v_cmp_ne_u64_e32 vcc, 0, v[4:5]
	s_and_saveexec_b64 s[2:3], vcc
	s_xor_b64 s[26:27], exec, s[2:3]
	s_cbranch_execz .LBB0_4
; %bb.3:                                ;   in Loop: Header=BB0_2 Depth=1
	v_cvt_f32_u32_e32 v5, s24
	v_cvt_f32_u32_e32 v8, s25
	s_sub_u32 s2, 0, s24
	s_subb_u32 s3, 0, s25
	v_fmac_f32_e32 v5, 0x4f800000, v8
	v_rcp_f32_e32 v5, v5
	s_nop 0
	v_mul_f32_e32 v5, 0x5f7ffffc, v5
	v_mul_f32_e32 v8, 0x2f800000, v5
	v_trunc_f32_e32 v8, v8
	v_fmac_f32_e32 v5, 0xcf800000, v8
	v_cvt_u32_f32_e32 v12, v8
	v_cvt_u32_f32_e32 v5, v5
	v_mul_lo_u32 v8, s2, v12
	v_mul_hi_u32 v10, s2, v5
	v_mul_lo_u32 v9, s3, v5
	v_add_u32_e32 v10, v10, v8
	v_mul_lo_u32 v13, s2, v5
	v_add_u32_e32 v14, v10, v9
	v_mul_hi_u32 v8, v5, v13
	v_mul_hi_u32 v11, v5, v14
	v_mul_lo_u32 v10, v5, v14
	v_mov_b32_e32 v9, v4
	v_lshl_add_u64 v[8:9], v[8:9], 0, v[10:11]
	v_mul_hi_u32 v11, v12, v13
	v_mul_lo_u32 v13, v12, v13
	v_add_co_u32_e32 v8, vcc, v8, v13
	v_mul_hi_u32 v10, v12, v14
	s_nop 0
	v_addc_co_u32_e32 v8, vcc, v9, v11, vcc
	v_mov_b32_e32 v9, v4
	s_nop 0
	v_addc_co_u32_e32 v11, vcc, 0, v10, vcc
	v_mul_lo_u32 v10, v12, v14
	v_lshl_add_u64 v[8:9], v[8:9], 0, v[10:11]
	v_add_co_u32_e32 v5, vcc, v5, v8
	v_mul_lo_u32 v10, s2, v5
	s_nop 0
	v_addc_co_u32_e32 v12, vcc, v12, v9, vcc
	v_mul_lo_u32 v8, s2, v12
	v_mul_hi_u32 v9, s2, v5
	v_add_u32_e32 v8, v9, v8
	v_mul_lo_u32 v9, s3, v5
	v_add_u32_e32 v13, v8, v9
	v_mul_hi_u32 v15, v12, v10
	v_mul_lo_u32 v16, v12, v10
	v_mul_hi_u32 v9, v5, v13
	v_mul_lo_u32 v8, v5, v13
	v_mul_hi_u32 v10, v5, v10
	v_mov_b32_e32 v11, v4
	v_lshl_add_u64 v[8:9], v[10:11], 0, v[8:9]
	v_add_co_u32_e32 v8, vcc, v8, v16
	v_mul_hi_u32 v14, v12, v13
	s_nop 0
	v_addc_co_u32_e32 v8, vcc, v9, v15, vcc
	v_mul_lo_u32 v10, v12, v13
	s_nop 0
	v_addc_co_u32_e32 v11, vcc, 0, v14, vcc
	v_mov_b32_e32 v9, v4
	v_lshl_add_u64 v[8:9], v[8:9], 0, v[10:11]
	v_add_co_u32_e32 v5, vcc, v5, v8
	v_mul_hi_u32 v10, v6, v5
	s_nop 0
	v_addc_co_u32_e32 v12, vcc, v12, v9, vcc
	v_mad_u64_u32 v[8:9], s[2:3], v6, v12, 0
	v_mov_b32_e32 v11, v4
	v_lshl_add_u64 v[8:9], v[10:11], 0, v[8:9]
	v_mad_u64_u32 v[10:11], s[2:3], v7, v12, 0
	v_mad_u64_u32 v[12:13], s[2:3], v7, v5, 0
	v_add_co_u32_e32 v5, vcc, v8, v12
	s_nop 1
	v_addc_co_u32_e32 v8, vcc, v9, v13, vcc
	v_mov_b32_e32 v9, v4
	s_nop 0
	v_addc_co_u32_e32 v11, vcc, 0, v11, vcc
	v_lshl_add_u64 v[8:9], v[8:9], 0, v[10:11]
	v_mul_lo_u32 v5, s25, v8
	v_mul_lo_u32 v12, s24, v9
	v_mad_u64_u32 v[10:11], s[2:3], s24, v8, 0
	v_add3_u32 v5, v11, v12, v5
	v_sub_u32_e32 v11, v7, v5
	v_mov_b32_e32 v12, s25
	v_sub_co_u32_e32 v14, vcc, v6, v10
	s_nop 1
	v_subb_co_u32_e64 v10, s[2:3], v11, v12, vcc
	v_subrev_co_u32_e64 v11, s[2:3], s24, v14
	v_subb_co_u32_e32 v5, vcc, v7, v5, vcc
	s_nop 0
	v_subbrev_co_u32_e64 v10, s[2:3], 0, v10, s[2:3]
	v_cmp_le_u32_e64 s[2:3], s25, v10
	v_cmp_le_u32_e32 vcc, s25, v5
	s_nop 0
	v_cndmask_b32_e64 v12, 0, -1, s[2:3]
	v_cmp_le_u32_e64 s[2:3], s24, v11
	s_nop 1
	v_cndmask_b32_e64 v11, 0, -1, s[2:3]
	v_cmp_eq_u32_e64 s[2:3], s25, v10
	s_nop 1
	v_cndmask_b32_e64 v15, v12, v11, s[2:3]
	v_lshl_add_u64 v[10:11], v[8:9], 0, 2
	v_lshl_add_u64 v[12:13], v[8:9], 0, 1
	v_cmp_ne_u32_e64 s[2:3], 0, v15
	s_nop 1
	v_cndmask_b32_e64 v11, v13, v11, s[2:3]
	v_cndmask_b32_e64 v13, 0, -1, vcc
	v_cmp_le_u32_e32 vcc, s24, v14
	s_nop 1
	v_cndmask_b32_e64 v14, 0, -1, vcc
	v_cmp_eq_u32_e32 vcc, s25, v5
	s_nop 1
	v_cndmask_b32_e32 v5, v13, v14, vcc
	v_cmp_ne_u32_e32 vcc, 0, v5
	v_cndmask_b32_e64 v5, v12, v10, s[2:3]
	s_nop 0
	v_cndmask_b32_e32 v71, v9, v11, vcc
	v_cndmask_b32_e32 v70, v8, v5, vcc
.LBB0_4:                                ;   in Loop: Header=BB0_2 Depth=1
	s_andn2_saveexec_b64 s[2:3], s[26:27]
	s_cbranch_execz .LBB0_6
; %bb.5:                                ;   in Loop: Header=BB0_2 Depth=1
	v_cvt_f32_u32_e32 v5, s24
	s_sub_i32 s26, 0, s24
	v_mov_b32_e32 v71, v4
	v_rcp_iflag_f32_e32 v5, v5
	s_nop 0
	v_mul_f32_e32 v5, 0x4f7ffffe, v5
	v_cvt_u32_f32_e32 v5, v5
	v_mul_lo_u32 v8, s26, v5
	v_mul_hi_u32 v8, v5, v8
	v_add_u32_e32 v5, v5, v8
	v_mul_hi_u32 v5, v6, v5
	v_mul_lo_u32 v8, v5, s24
	v_sub_u32_e32 v8, v6, v8
	v_add_u32_e32 v9, 1, v5
	v_subrev_u32_e32 v10, s24, v8
	v_cmp_le_u32_e32 vcc, s24, v8
	s_nop 1
	v_cndmask_b32_e32 v8, v8, v10, vcc
	v_cndmask_b32_e32 v5, v5, v9, vcc
	v_add_u32_e32 v9, 1, v5
	v_cmp_le_u32_e32 vcc, s24, v8
	s_nop 1
	v_cndmask_b32_e32 v70, v5, v9, vcc
.LBB0_6:                                ;   in Loop: Header=BB0_2 Depth=1
	s_or_b64 exec, exec, s[2:3]
	v_mad_u64_u32 v[8:9], s[2:3], v70, s24, 0
	s_load_dwordx2 s[2:3], s[18:19], 0x0
	v_mul_lo_u32 v5, v71, s24
	v_mul_lo_u32 v10, v70, s25
	s_load_dwordx2 s[24:25], s[16:17], 0x0
	s_add_u32 s22, s22, 1
	v_add3_u32 v5, v9, v10, v5
	v_sub_co_u32_e32 v6, vcc, v6, v8
	s_addc_u32 s23, s23, 0
	s_nop 0
	v_subb_co_u32_e32 v5, vcc, v7, v5, vcc
	s_add_u32 s16, s16, 8
	s_waitcnt lgkmcnt(0)
	v_mul_lo_u32 v7, s2, v5
	v_mul_lo_u32 v8, s3, v6
	v_mad_u64_u32 v[2:3], s[2:3], s2, v6, v[2:3]
	s_addc_u32 s17, s17, 0
	v_add3_u32 v3, v8, v3, v7
	v_mul_lo_u32 v5, s24, v5
	v_mul_lo_u32 v7, s25, v6
	v_mad_u64_u32 v[68:69], s[2:3], s24, v6, v[68:69]
	s_add_u32 s18, s18, 8
	v_add3_u32 v69, v7, v69, v5
	s_addc_u32 s19, s19, 0
	v_mov_b64_e32 v[6:7], s[10:11]
	s_add_u32 s20, s20, 8
	v_cmp_ge_u64_e32 vcc, s[22:23], v[6:7]
	s_addc_u32 s21, s21, 0
	s_cbranch_vccnz .LBB0_9
; %bb.7:                                ;   in Loop: Header=BB0_2 Depth=1
	v_mov_b64_e32 v[6:7], v[70:71]
	s_branch .LBB0_2
.LBB0_8:
	v_mov_b64_e32 v[68:69], v[2:3]
	v_mov_b64_e32 v[70:71], v[6:7]
.LBB0_9:
	s_load_dwordx2 s[0:1], s[0:1], 0x28
	s_lshl_b64 s[16:17], s[10:11], 3
	s_add_u32 s2, s14, s16
	s_addc_u32 s3, s15, s17
	v_and_b32_e32 v72, 15, v0
	s_waitcnt lgkmcnt(0)
	v_cmp_gt_u64_e32 vcc, s[0:1], v[70:71]
	v_cmp_le_u64_e64 s[0:1], s[0:1], v[70:71]
	s_and_saveexec_b64 s[10:11], s[0:1]
	s_xor_b64 s[0:1], exec, s[10:11]
; %bb.10:
	v_and_b32_e32 v72, 15, v0
                                        ; implicit-def: $vgpr2_vgpr3
; %bb.11:
	s_or_saveexec_b64 s[10:11], s[0:1]
	s_load_dwordx2 s[2:3], s[2:3], 0x0
	v_mul_u32_u24_e32 v4, 0x61, v1
	v_lshlrev_b32_e32 v11, 4, v4
	s_xor_b64 exec, exec, s[10:11]
	s_cbranch_execz .LBB0_15
; %bb.12:
	s_add_u32 s0, s12, s16
	s_addc_u32 s1, s13, s17
	s_load_dwordx2 s[0:1], s[0:1], 0x0
	v_lshlrev_b32_e32 v32, 4, v72
	v_mov_b32_e32 v33, 0
	s_waitcnt lgkmcnt(0)
	v_mul_lo_u32 v5, s1, v70
	v_mul_lo_u32 v6, s0, v71
	v_mad_u64_u32 v[0:1], s[0:1], s0, v70, 0
	v_add3_u32 v1, v1, v6, v5
	v_lshl_add_u64 v[0:1], v[0:1], 4, s[4:5]
	v_lshl_add_u64 v[0:1], v[2:3], 4, v[0:1]
	;; [unrolled: 1-line block ×3, first 2 shown]
	global_load_dwordx4 v[6:9], v[2:3], off
	global_load_dwordx4 v[12:15], v[2:3], off offset:256
	global_load_dwordx4 v[16:19], v[2:3], off offset:512
	;; [unrolled: 1-line block ×5, first 2 shown]
	v_add3_u32 v2, 0, v11, v32
	v_cmp_eq_u32_e64 s[0:1], 15, v72
	s_waitcnt vmcnt(5)
	ds_write_b128 v2, v[6:9]
	s_waitcnt vmcnt(4)
	ds_write_b128 v2, v[12:15] offset:256
	s_waitcnt vmcnt(3)
	ds_write_b128 v2, v[16:19] offset:512
	;; [unrolled: 2-line block ×5, first 2 shown]
	s_and_saveexec_b64 s[4:5], s[0:1]
	s_cbranch_execz .LBB0_14
; %bb.13:
	global_load_dwordx4 v[6:9], v[0:1], off offset:1536
	v_mov_b32_e32 v72, 15
	s_waitcnt vmcnt(0)
	ds_write_b128 v2, v[6:9] offset:1296
.LBB0_14:
	s_or_b64 exec, exec, s[4:5]
.LBB0_15:
	s_or_b64 exec, exec, s[10:11]
	v_lshl_add_u32 v74, v4, 4, 0
	v_lshlrev_b32_e32 v12, 4, v72
	v_add_u32_e32 v75, v74, v12
	s_waitcnt lgkmcnt(0)
	s_barrier
	v_sub_u32_e32 v10, v74, v12
	ds_read_b64 v[6:7], v75
	ds_read_b64 v[8:9], v10 offset:1536
	v_cmp_ne_u32_e64 s[0:1], 0, v72
                                        ; implicit-def: $vgpr4_vgpr5
	s_waitcnt lgkmcnt(0)
	v_add_f64 v[0:1], v[6:7], v[8:9]
	v_add_f64 v[2:3], v[6:7], -v[8:9]
	s_and_saveexec_b64 s[4:5], s[0:1]
	s_xor_b64 s[0:1], exec, s[4:5]
	s_cbranch_execz .LBB0_17
; %bb.16:
	v_mov_b32_e32 v73, 0
	v_lshl_add_u64 v[0:1], v[72:73], 4, s[8:9]
	global_load_dwordx4 v[14:17], v[0:1], off offset:1440
	ds_read_b64 v[0:1], v10 offset:1544
	ds_read_b64 v[2:3], v75 offset:8
	v_add_f64 v[4:5], v[6:7], v[8:9]
	v_add_f64 v[8:9], v[6:7], -v[8:9]
	s_waitcnt lgkmcnt(0)
	v_add_f64 v[18:19], v[0:1], v[2:3]
	v_add_f64 v[0:1], v[2:3], -v[0:1]
	s_waitcnt vmcnt(0)
	v_fma_f64 v[20:21], v[8:9], v[16:17], v[4:5]
	v_fma_f64 v[4:5], -v[8:9], v[16:17], v[4:5]
	v_fma_f64 v[6:7], v[18:19], v[16:17], -v[0:1]
	v_fma_f64 v[2:3], v[18:19], v[16:17], v[0:1]
	v_fmac_f64_e32 v[4:5], v[18:19], v[14:15]
	v_fmac_f64_e32 v[6:7], v[8:9], v[14:15]
	v_fma_f64 v[0:1], -v[18:19], v[14:15], v[20:21]
	v_fmac_f64_e32 v[2:3], v[8:9], v[14:15]
	ds_write_b128 v10, v[4:7] offset:1536
	v_mov_b64_e32 v[4:5], v[72:73]
.LBB0_17:
	s_andn2_saveexec_b64 s[0:1], s[0:1]
	s_cbranch_execz .LBB0_19
; %bb.18:
	ds_read_b128 v[4:7], v74 offset:768
	s_waitcnt lgkmcnt(0)
	v_add_f64 v[4:5], v[4:5], v[4:5]
	v_mul_f64 v[6:7], v[6:7], -2.0
	ds_write_b128 v74, v[4:7] offset:768
	v_mov_b64_e32 v[4:5], 0
.LBB0_19:
	s_or_b64 exec, exec, s[0:1]
	s_add_u32 s0, s8, 0x5a0
	s_addc_u32 s1, s9, 0
	v_lshl_add_u64 v[8:9], v[4:5], 4, s[0:1]
	global_load_dwordx4 v[4:7], v[8:9], off offset:256
	global_load_dwordx4 v[14:17], v[8:9], off offset:512
	ds_write_b128 v75, v[0:3]
	ds_read_b128 v[0:3], v75 offset:256
	ds_read_b128 v[18:21], v10 offset:1280
	v_add3_u32 v73, 0, v12, v11
	s_mov_b32 s0, 0xe8584caa
	s_mov_b32 s1, 0xbfebb67a
	;; [unrolled: 1-line block ×3, first 2 shown]
	s_waitcnt lgkmcnt(0)
	v_add_f64 v[8:9], v[0:1], v[18:19]
	v_add_f64 v[12:13], v[20:21], v[2:3]
	v_add_f64 v[22:23], v[0:1], -v[18:19]
	v_add_f64 v[0:1], v[2:3], -v[20:21]
	s_mov_b32 s4, s0
                                        ; implicit-def: $vgpr58_vgpr59
                                        ; implicit-def: $vgpr46_vgpr47
                                        ; implicit-def: $vgpr42_vgpr43
                                        ; implicit-def: $vgpr62_vgpr63
                                        ; implicit-def: $vgpr54_vgpr55
                                        ; implicit-def: $vgpr50_vgpr51
	s_waitcnt vmcnt(1)
	v_fma_f64 v[24:25], v[22:23], v[6:7], v[8:9]
	v_fma_f64 v[2:3], v[12:13], v[6:7], v[0:1]
	v_fma_f64 v[18:19], -v[22:23], v[6:7], v[8:9]
	v_fma_f64 v[20:21], v[12:13], v[6:7], -v[0:1]
	v_fma_f64 v[0:1], -v[12:13], v[4:5], v[24:25]
	v_fmac_f64_e32 v[2:3], v[22:23], v[4:5]
	v_fmac_f64_e32 v[18:19], v[12:13], v[4:5]
	;; [unrolled: 1-line block ×3, first 2 shown]
	ds_write_b128 v75, v[0:3] offset:256
	ds_write_b128 v10, v[18:21] offset:1280
	ds_read_b128 v[0:3], v75 offset:512
	ds_read_b128 v[4:7], v10 offset:1024
	s_waitcnt lgkmcnt(0)
	v_add_f64 v[8:9], v[0:1], v[4:5]
	v_add_f64 v[12:13], v[6:7], v[2:3]
	v_add_f64 v[18:19], v[0:1], -v[4:5]
	v_add_f64 v[0:1], v[2:3], -v[6:7]
	s_waitcnt vmcnt(0)
	v_fma_f64 v[20:21], v[18:19], v[16:17], v[8:9]
	v_fma_f64 v[2:3], v[12:13], v[16:17], v[0:1]
	v_fma_f64 v[4:5], -v[18:19], v[16:17], v[8:9]
	v_fma_f64 v[6:7], v[12:13], v[16:17], -v[0:1]
	v_fma_f64 v[0:1], -v[12:13], v[14:15], v[20:21]
	v_fmac_f64_e32 v[2:3], v[18:19], v[14:15]
	v_fmac_f64_e32 v[4:5], v[12:13], v[14:15]
	;; [unrolled: 1-line block ×3, first 2 shown]
	ds_write_b128 v75, v[0:3] offset:512
	ds_write_b128 v10, v[4:7] offset:1024
	s_waitcnt lgkmcnt(0)
	s_barrier
	s_barrier
	ds_read_b128 v[12:15], v75
	ds_read_b128 v[4:7], v73 offset:256
	ds_read_b128 v[0:3], v73 offset:512
	;; [unrolled: 1-line block ×5, first 2 shown]
	s_waitcnt lgkmcnt(0)
	v_add_f64 v[24:25], v[12:13], v[0:1]
	v_add_f64 v[38:39], v[6:7], v[10:11]
	;; [unrolled: 1-line block ×3, first 2 shown]
	v_add_f64 v[36:37], v[10:11], -v[22:23]
	v_add_f64 v[10:11], v[10:11], v[22:23]
	v_add_f64 v[28:29], v[2:3], -v[18:19]
	v_add_f64 v[30:31], v[14:15], v[2:3]
	v_add_f64 v[2:3], v[2:3], v[18:19]
	v_add_f64 v[32:33], v[4:5], v[8:9]
	v_add_f64 v[34:35], v[8:9], v[20:21]
	v_add_f64 v[8:9], v[8:9], -v[20:21]
	v_fmac_f64_e32 v[6:7], -0.5, v[10:11]
	v_add_f64 v[0:1], v[0:1], -v[16:17]
	v_add_f64 v[16:17], v[24:25], v[16:17]
	v_fmac_f64_e32 v[12:13], -0.5, v[26:27]
	v_add_f64 v[18:19], v[30:31], v[18:19]
	v_fmac_f64_e32 v[14:15], -0.5, v[2:3]
	;; [unrolled: 2-line block ×3, first 2 shown]
	v_add_f64 v[22:23], v[38:39], v[22:23]
	v_fma_f64 v[26:27], s[4:5], v[8:9], v[6:7]
	v_fmac_f64_e32 v[6:7], s[0:1], v[8:9]
	v_fma_f64 v[10:11], s[0:1], v[28:29], v[12:13]
	v_fmac_f64_e32 v[12:13], s[4:5], v[28:29]
	;; [unrolled: 2-line block ×4, first 2 shown]
	v_add_f64 v[0:1], v[16:17], v[20:21]
	v_add_f64 v[2:3], v[18:19], v[22:23]
	v_add_f64 v[16:17], v[16:17], -v[20:21]
	v_add_f64 v[18:19], v[18:19], -v[22:23]
	v_mul_f64 v[8:9], v[26:27], s[0:1]
	v_mul_f64 v[20:21], v[6:7], s[0:1]
	v_mul_f64 v[22:23], v[26:27], 0.5
	v_mul_f64 v[30:31], v[6:7], -0.5
	v_fmac_f64_e32 v[8:9], 0.5, v[24:25]
	v_fmac_f64_e32 v[20:21], -0.5, v[4:5]
	v_fmac_f64_e32 v[22:23], s[4:5], v[24:25]
	v_fmac_f64_e32 v[30:31], s[4:5], v[4:5]
	s_movk_i32 s0, 0x50
	v_add_f64 v[4:5], v[10:11], v[8:9]
	v_add_f64 v[24:25], v[12:13], v[20:21]
	;; [unrolled: 1-line block ×4, first 2 shown]
	v_add_f64 v[8:9], v[10:11], -v[8:9]
	v_add_f64 v[12:13], v[12:13], -v[20:21]
	;; [unrolled: 1-line block ×4, first 2 shown]
	v_mad_u32_u24 v20, v72, s0, v73
	v_cmp_gt_u32_e64 s[0:1], 6, v72
	s_barrier
	ds_write_b128 v20, v[0:3]
	ds_write_b128 v20, v[4:7] offset:16
	ds_write_b128 v20, v[24:27] offset:32
	;; [unrolled: 1-line block ×5, first 2 shown]
	s_waitcnt lgkmcnt(0)
	s_barrier
	s_waitcnt lgkmcnt(0)
                                        ; implicit-def: $vgpr30_vgpr31
                                        ; implicit-def: $vgpr22_vgpr23
                                        ; implicit-def: $vgpr38_vgpr39
                                        ; implicit-def: $vgpr34_vgpr35
	s_and_saveexec_b64 s[4:5], s[0:1]
	s_cbranch_execz .LBB0_21
; %bb.20:
	ds_read_b128 v[0:3], v75
	ds_read_b128 v[4:7], v73 offset:96
	ds_read_b128 v[24:27], v73 offset:192
	;; [unrolled: 1-line block ×15, first 2 shown]
.LBB0_21:
	s_or_b64 exec, exec, s[4:5]
	s_waitcnt lgkmcnt(0)
	s_barrier
	s_and_saveexec_b64 s[4:5], s[0:1]
	s_cbranch_execz .LBB0_23
; %bb.22:
	s_movk_i32 s0, 0xab
	v_mul_lo_u16_sdwa v64, v72, s0 dst_sel:DWORD dst_unused:UNUSED_PAD src0_sel:BYTE_0 src1_sel:DWORD
	v_lshrrev_b16_e32 v64, 10, v64
	v_mul_lo_u16_e32 v64, 6, v64
	v_sub_u16_e32 v64, v72, v64
	v_mul_lo_u16_e32 v64, 15, v64
	v_mov_b32_e32 v65, 4
	v_lshlrev_b32_sdwa v106, v65, v64 dst_sel:DWORD dst_unused:UNUSED_PAD src0_sel:DWORD src1_sel:BYTE_0
	global_load_dwordx4 v[64:67], v106, s[8:9] offset:16
	global_load_dwordx4 v[76:79], v106, s[8:9] offset:144
	;; [unrolled: 1-line block ×3, first 2 shown]
	global_load_dwordx4 v[84:87], v106, s[8:9]
	s_mov_b32 s0, 0x667f3bcd
	s_mov_b32 s1, 0x3fe6a09e
	;; [unrolled: 1-line block ×10, first 2 shown]
	s_waitcnt vmcnt(3)
	v_mul_f64 v[88:89], v[24:25], v[66:67]
	v_mul_f64 v[90:91], v[26:27], v[66:67]
	v_fma_f64 v[88:89], v[26:27], v[64:65], -v[88:89]
	v_fmac_f64_e32 v[90:91], v[24:25], v[64:65]
	s_waitcnt vmcnt(2)
	v_mul_f64 v[64:65], v[56:57], v[78:79]
	v_mul_f64 v[78:79], v[58:59], v[78:79]
	v_fma_f64 v[92:93], v[58:59], v[76:77], -v[64:65]
	v_fmac_f64_e32 v[78:79], v[56:57], v[76:77]
	s_waitcnt vmcnt(1)
	v_mul_f64 v[76:77], v[50:51], v[82:83]
	v_mul_f64 v[64:65], v[48:49], v[82:83]
	global_load_dwordx4 v[24:27], v106, s[8:9] offset:128
	global_load_dwordx4 v[56:59], v106, s[8:9] offset:64
	v_fmac_f64_e32 v[76:77], v[48:49], v[80:81]
	v_fma_f64 v[80:81], v[50:51], v[80:81], -v[64:65]
	global_load_dwordx4 v[48:51], v106, s[8:9] offset:208
	global_load_dwordx4 v[64:67], v106, s[8:9] offset:192
	s_waitcnt vmcnt(1)
	v_mul_f64 v[82:83], v[62:63], v[50:51]
	v_mul_f64 v[50:51], v[60:61], v[50:51]
	v_fmac_f64_e32 v[82:83], v[60:61], v[48:49]
	v_fma_f64 v[94:95], v[62:63], v[48:49], -v[50:51]
	global_load_dwordx4 v[48:51], v106, s[8:9] offset:32
	global_load_dwordx4 v[60:63], v106, s[8:9] offset:48
	s_waitcnt vmcnt(1)
	v_mul_f64 v[96:97], v[16:17], v[50:51]
	v_mul_f64 v[98:99], v[18:19], v[50:51]
	v_fma_f64 v[96:97], v[18:19], v[48:49], -v[96:97]
	v_fmac_f64_e32 v[98:99], v[16:17], v[48:49]
	global_load_dwordx4 v[16:19], v106, s[8:9] offset:160
	global_load_dwordx4 v[48:51], v106, s[8:9] offset:176
	s_waitcnt vmcnt(1)
	v_mul_f64 v[100:101], v[44:45], v[18:19]
	v_mul_f64 v[102:103], v[46:47], v[18:19]
	v_fma_f64 v[100:101], v[46:47], v[16:17], -v[100:101]
	v_fmac_f64_e32 v[102:103], v[44:45], v[16:17]
	global_load_dwordx4 v[16:19], v106, s[8:9] offset:96
	global_load_dwordx4 v[44:47], v106, s[8:9] offset:112
	s_waitcnt vmcnt(1)
	v_mul_f64 v[104:105], v[30:31], v[18:19]
	v_mul_f64 v[18:19], v[28:29], v[18:19]
	v_fmac_f64_e32 v[104:105], v[28:29], v[16:17]
	v_fma_f64 v[28:29], v[30:31], v[16:17], -v[18:19]
	global_load_dwordx4 v[16:19], v106, s[8:9] offset:224
	s_mov_b32 s9, 0xbfe6a09e
	s_mov_b32 s8, s0
	s_waitcnt vmcnt(0)
	v_mul_f64 v[30:31], v[54:55], v[18:19]
	v_mul_f64 v[18:19], v[52:53], v[18:19]
	v_fmac_f64_e32 v[30:31], v[52:53], v[16:17]
	v_fma_f64 v[16:17], v[54:55], v[16:17], -v[18:19]
	v_mul_f64 v[18:19], v[4:5], v[86:87]
	v_fma_f64 v[18:19], v[6:7], v[84:85], -v[18:19]
	v_mul_f64 v[6:7], v[6:7], v[86:87]
	v_fmac_f64_e32 v[6:7], v[4:5], v[84:85]
	v_mul_f64 v[4:5], v[32:33], v[26:27]
	v_mul_f64 v[26:27], v[34:35], v[26:27]
	v_fma_f64 v[4:5], v[34:35], v[24:25], -v[4:5]
	v_fmac_f64_e32 v[26:27], v[32:33], v[24:25]
	v_mul_f64 v[24:25], v[14:15], v[58:59]
	v_mul_f64 v[32:33], v[12:13], v[58:59]
	v_fmac_f64_e32 v[24:25], v[12:13], v[56:57]
	v_fma_f64 v[12:13], v[14:15], v[56:57], -v[32:33]
	v_mul_f64 v[14:15], v[42:43], v[66:67]
	v_mul_f64 v[32:33], v[40:41], v[66:67]
	v_fmac_f64_e32 v[14:15], v[40:41], v[64:65]
	v_fma_f64 v[32:33], v[42:43], v[64:65], -v[32:33]
	v_mul_f64 v[40:41], v[38:39], v[50:51]
	v_mul_f64 v[42:43], v[36:37], v[50:51]
	;; [unrolled: 1-line block ×5, first 2 shown]
	v_fma_f64 v[22:23], v[22:23], v[44:45], -v[50:51]
	v_mul_f64 v[52:53], v[8:9], v[62:63]
	v_fmac_f64_e32 v[34:35], v[8:9], v[60:61]
	v_fmac_f64_e32 v[40:41], v[36:37], v[48:49]
	;; [unrolled: 1-line block ×3, first 2 shown]
	v_add_f64 v[20:21], v[2:3], -v[22:23]
	v_fma_f64 v[8:9], v[10:11], v[60:61], -v[52:53]
	v_fma_f64 v[10:11], v[38:39], v[48:49], -v[42:43]
	v_add_f64 v[22:23], v[0:1], -v[46:47]
	v_add_f64 v[36:37], v[88:89], -v[92:93]
	;; [unrolled: 1-line block ×3, first 2 shown]
	v_fma_f64 v[42:43], v[2:3], 2.0, -v[20:21]
	v_add_f64 v[2:3], v[34:35], -v[40:41]
	v_fma_f64 v[44:45], v[0:1], 2.0, -v[22:23]
	v_fma_f64 v[46:47], v[76:77], 2.0, -v[38:39]
	v_add_f64 v[0:1], v[36:37], -v[38:39]
	v_fma_f64 v[34:35], v[34:35], 2.0, -v[2:3]
	v_add_f64 v[38:39], v[20:21], -v[2:3]
	v_add_f64 v[2:3], v[90:91], -v[78:79]
	;; [unrolled: 1-line block ×4, first 2 shown]
	v_fma_f64 v[48:49], v[80:81], 2.0, -v[40:41]
	v_add_f64 v[40:41], v[2:3], v[40:41]
	v_fma_f64 v[50:51], v[8:9], 2.0, -v[10:11]
	v_add_f64 v[8:9], v[22:23], v[10:11]
	v_fma_f64 v[10:11], s[0:1], v[40:41], v[8:9]
	v_add_f64 v[58:59], v[98:99], -v[102:103]
	v_add_f64 v[16:17], v[28:29], -v[16:17]
	;; [unrolled: 1-line block ×4, first 2 shown]
	v_fmac_f64_e32 v[10:11], s[0:1], v[0:1]
	v_fma_f64 v[52:53], v[88:89], 2.0, -v[36:37]
	v_fma_f64 v[36:37], v[36:37], 2.0, -v[0:1]
	v_fma_f64 v[54:55], s[0:1], v[0:1], v[38:39]
	v_fma_f64 v[56:57], v[90:91], 2.0, -v[2:3]
	v_fma_f64 v[0:1], v[2:3], 2.0, -v[40:41]
	v_add_f64 v[2:3], v[18:19], -v[4:5]
	v_add_f64 v[4:5], v[24:25], -v[14:15]
	;; [unrolled: 1-line block ×4, first 2 shown]
	v_fma_f64 v[28:29], v[28:29], 2.0, -v[16:17]
	v_add_f64 v[16:17], v[58:59], v[16:17]
	v_fma_f64 v[60:61], v[12:13], 2.0, -v[32:33]
	v_add_f64 v[12:13], v[26:27], v[32:33]
	v_fmac_f64_e32 v[54:55], s[8:9], v[40:41]
	v_fma_f64 v[24:25], v[24:25], 2.0, -v[4:5]
	v_add_f64 v[4:5], v[2:3], -v[4:5]
	v_fma_f64 v[40:41], v[104:105], 2.0, -v[30:31]
	v_add_f64 v[30:31], v[14:15], -v[30:31]
	v_fma_f64 v[32:33], s[0:1], v[16:17], v[12:13]
	v_fmac_f64_e32 v[32:33], s[0:1], v[30:31]
	v_fma_f64 v[62:63], v[96:97], 2.0, -v[14:15]
	v_fma_f64 v[14:15], v[14:15], 2.0, -v[30:31]
	v_fma_f64 v[30:31], s[0:1], v[30:31], v[4:5]
	v_fma_f64 v[84:85], v[20:21], 2.0, -v[38:39]
	v_fmac_f64_e32 v[30:31], s[8:9], v[16:17]
	v_fma_f64 v[16:17], v[58:59], 2.0, -v[16:17]
	v_fma_f64 v[76:77], v[2:3], 2.0, -v[4:5]
	;; [unrolled: 1-line block ×3, first 2 shown]
	v_fma_f64 v[86:87], s[8:9], v[36:37], v[84:85]
	v_fma_f64 v[88:89], v[22:23], 2.0, -v[8:9]
	v_fma_f64 v[78:79], s[8:9], v[14:15], v[76:77]
	v_fma_f64 v[82:83], s[8:9], v[16:17], v[80:81]
	v_fmac_f64_e32 v[86:87], s[8:9], v[0:1]
	v_fma_f64 v[90:91], s[8:9], v[0:1], v[88:89]
	v_fma_f64 v[0:1], s[14:15], v[32:33], v[10:11]
	v_fmac_f64_e32 v[78:79], s[8:9], v[16:17]
	v_fmac_f64_e32 v[82:83], s[0:1], v[14:15]
	;; [unrolled: 1-line block ×3, first 2 shown]
	v_fma_f64 v[14:15], v[4:5], 2.0, -v[30:31]
	v_fma_f64 v[16:17], v[38:39], 2.0, -v[54:55]
	;; [unrolled: 1-line block ×7, first 2 shown]
	v_fma_f64 v[10:11], s[10:11], v[14:15], v[16:17]
	v_fmac_f64_e32 v[10:11], s[16:17], v[12:13]
	v_fma_f64 v[8:9], s[10:11], v[12:13], v[18:19]
	v_fma_f64 v[2:3], s[14:15], v[30:31], v[54:55]
	v_fmac_f64_e32 v[8:9], s[14:15], v[14:15]
	v_fma_f64 v[14:15], v[16:17], 2.0, -v[10:11]
	v_add_f64 v[20:21], v[42:43], -v[50:51]
	v_add_f64 v[16:17], v[56:57], -v[46:47]
	v_fma_f64 v[66:67], v[6:7], 2.0, -v[26:27]
	v_fmac_f64_e32 v[2:3], s[10:11], v[32:33]
	v_fma_f64 v[50:51], v[56:57], 2.0, -v[16:17]
	v_add_f64 v[22:23], v[20:21], -v[16:17]
	v_add_f64 v[26:27], v[58:59], -v[60:61]
	;; [unrolled: 1-line block ×3, first 2 shown]
	v_fma_f64 v[6:7], v[54:55], 2.0, -v[2:3]
	v_fma_f64 v[54:55], v[64:65], 2.0, -v[16:17]
	v_add_f64 v[30:31], v[26:27], -v[16:17]
	v_add_f64 v[24:25], v[66:67], -v[24:25]
	;; [unrolled: 1-line block ×4, first 2 shown]
	v_fmac_f64_e32 v[90:91], s[0:1], v[36:37]
	v_fma_f64 v[56:57], v[62:63], 2.0, -v[16:17]
	v_add_f64 v[28:29], v[24:25], v[16:17]
	v_add_f64 v[16:17], v[52:53], -v[48:49]
	v_fma_f64 v[62:63], v[44:45], 2.0, -v[32:33]
	v_fma_f64 v[44:45], v[76:77], 2.0, -v[78:79]
	;; [unrolled: 1-line block ×3, first 2 shown]
	v_add_f64 v[34:35], v[32:33], v[16:17]
	v_fma_f64 v[60:61], v[42:43], 2.0, -v[20:21]
	v_fma_f64 v[40:41], v[80:81], 2.0, -v[82:83]
	;; [unrolled: 1-line block ×3, first 2 shown]
	v_fma_f64 v[42:43], s[16:17], v[44:45], v[46:47]
	v_fma_f64 v[12:13], v[18:19], 2.0, -v[8:9]
	v_fma_f64 v[48:49], v[52:53], 2.0, -v[16:17]
	v_fma_f64 v[18:19], s[0:1], v[30:31], v[22:23]
	v_fma_f64 v[16:17], s[0:1], v[28:29], v[34:35]
	v_fmac_f64_e32 v[42:43], s[10:11], v[40:41]
	v_fma_f64 v[40:41], s[16:17], v[40:41], v[64:65]
	v_fmac_f64_e32 v[16:17], s[0:1], v[30:31]
	v_fma_f64 v[52:53], v[58:59], 2.0, -v[26:27]
	v_fma_f64 v[30:31], v[26:27], 2.0, -v[30:31]
	v_fmac_f64_e32 v[18:19], s[8:9], v[28:29]
	v_fma_f64 v[58:59], v[66:67], 2.0, -v[24:25]
	v_fma_f64 v[24:25], v[24:25], 2.0, -v[28:29]
	;; [unrolled: 1-line block ×3, first 2 shown]
	v_fmac_f64_e32 v[40:41], s[12:13], v[44:45]
	v_fma_f64 v[32:33], v[32:33], 2.0, -v[34:35]
	v_fma_f64 v[26:27], s[8:9], v[30:31], v[28:29]
	v_fma_f64 v[44:45], v[64:65], 2.0, -v[40:41]
	v_add_f64 v[64:65], v[60:61], -v[48:49]
	v_add_f64 v[66:67], v[58:59], -v[54:55]
	v_fmac_f64_e32 v[26:27], s[8:9], v[24:25]
	v_fma_f64 v[24:25], s[8:9], v[24:25], v[32:33]
	v_add_f64 v[76:77], v[62:63], -v[50:51]
	v_add_f64 v[48:49], v[52:53], -v[56:57]
	;; [unrolled: 1-line block ×3, first 2 shown]
	v_fmac_f64_e32 v[24:25], s[0:1], v[30:31]
	v_fma_f64 v[56:57], v[52:53], 2.0, -v[48:49]
	v_fma_f64 v[60:61], v[60:61], 2.0, -v[64:65]
	;; [unrolled: 1-line block ×8, first 2 shown]
	v_fma_f64 v[34:35], s[12:13], v[78:79], v[86:87]
	v_fma_f64 v[32:33], s[12:13], v[82:83], v[90:91]
	v_add_f64 v[58:59], v[60:61], -v[56:57]
	v_add_f64 v[56:57], v[64:65], -v[62:63]
	v_fmac_f64_e32 v[32:33], s[14:15], v[78:79]
	v_fmac_f64_e32 v[34:35], s[16:17], v[82:83]
	v_add_f64 v[48:49], v[76:77], v[48:49]
	v_fma_f64 v[62:63], v[60:61], 2.0, -v[58:59]
	v_fma_f64 v[60:61], v[64:65], 2.0, -v[56:57]
	v_fma_f64 v[22:23], v[22:23], 2.0, -v[18:19]
	v_fma_f64 v[38:39], v[86:87], 2.0, -v[34:35]
	v_fma_f64 v[36:37], v[90:91], 2.0, -v[32:33]
	v_fma_f64 v[46:47], v[46:47], 2.0, -v[42:43]
	v_fma_f64 v[52:53], v[76:77], 2.0, -v[48:49]
	ds_write_b128 v75, v[60:63]
	ds_write_b128 v73, v[44:47] offset:96
	ds_write_b128 v73, v[28:31] offset:192
	;; [unrolled: 1-line block ×15, first 2 shown]
.LBB0_23:
	s_or_b64 exec, exec, s[4:5]
	s_waitcnt lgkmcnt(0)
	s_barrier
	s_and_saveexec_b64 s[0:1], vcc
	s_cbranch_execz .LBB0_25
; %bb.24:
	v_mul_lo_u32 v0, s3, v70
	v_mul_lo_u32 v1, s2, v71
	v_mad_u64_u32 v[4:5], s[0:1], s2, v70, 0
	v_lshl_add_u32 v12, v72, 4, v74
	v_add3_u32 v5, v5, v1, v0
	ds_read_b128 v[0:3], v12
	v_lshl_add_u64 v[4:5], v[4:5], 4, s[6:7]
	v_lshl_add_u64 v[8:9], v[68:69], 4, v[4:5]
	ds_read_b128 v[4:7], v12 offset:256
	v_mov_b32_e32 v73, 0
	v_lshl_add_u64 v[10:11], v[72:73], 4, v[8:9]
	s_waitcnt lgkmcnt(1)
	global_store_dwordx4 v[10:11], v[0:3], off
	s_nop 1
	v_add_u32_e32 v0, 16, v72
	v_mov_b32_e32 v1, v73
	v_lshl_add_u64 v[0:1], v[0:1], 4, v[8:9]
	s_waitcnt lgkmcnt(0)
	global_store_dwordx4 v[0:1], v[4:7], off
	ds_read_b128 v[0:3], v12 offset:512
	s_nop 0
	v_add_u32_e32 v4, 32, v72
	v_mov_b32_e32 v5, v73
	v_lshl_add_u64 v[10:11], v[4:5], 4, v[8:9]
	ds_read_b128 v[4:7], v12 offset:768
	s_waitcnt lgkmcnt(1)
	global_store_dwordx4 v[10:11], v[0:3], off
	v_add_u32_e32 v10, 64, v72
	v_mov_b32_e32 v11, v73
	v_add_u32_e32 v0, 48, v72
	v_mov_b32_e32 v1, v73
	v_lshl_add_u64 v[0:1], v[0:1], 4, v[8:9]
	s_waitcnt lgkmcnt(0)
	global_store_dwordx4 v[0:1], v[4:7], off
	ds_read_b128 v[0:3], v12 offset:1024
	ds_read_b128 v[4:7], v12 offset:1280
	v_lshl_add_u64 v[10:11], v[10:11], 4, v[8:9]
	v_add_u32_e32 v72, 0x50, v72
	s_waitcnt lgkmcnt(1)
	global_store_dwordx4 v[10:11], v[0:3], off
	s_nop 1
	v_lshl_add_u64 v[0:1], v[72:73], 4, v[8:9]
	s_waitcnt lgkmcnt(0)
	global_store_dwordx4 v[0:1], v[4:7], off
.LBB0_25:
	s_endpgm
	.section	.rodata,"a",@progbits
	.p2align	6, 0x0
	.amdhsa_kernel fft_rtc_back_len96_factors_6_16_wgs_128_tpt_16_dp_op_CI_CI_unitstride_sbrr_C2R_dirReg
		.amdhsa_group_segment_fixed_size 0
		.amdhsa_private_segment_fixed_size 0
		.amdhsa_kernarg_size 104
		.amdhsa_user_sgpr_count 2
		.amdhsa_user_sgpr_dispatch_ptr 0
		.amdhsa_user_sgpr_queue_ptr 0
		.amdhsa_user_sgpr_kernarg_segment_ptr 1
		.amdhsa_user_sgpr_dispatch_id 0
		.amdhsa_user_sgpr_kernarg_preload_length 0
		.amdhsa_user_sgpr_kernarg_preload_offset 0
		.amdhsa_user_sgpr_private_segment_size 0
		.amdhsa_uses_dynamic_stack 0
		.amdhsa_enable_private_segment 0
		.amdhsa_system_sgpr_workgroup_id_x 1
		.amdhsa_system_sgpr_workgroup_id_y 0
		.amdhsa_system_sgpr_workgroup_id_z 0
		.amdhsa_system_sgpr_workgroup_info 0
		.amdhsa_system_vgpr_workitem_id 0
		.amdhsa_next_free_vgpr 107
		.amdhsa_next_free_sgpr 28
		.amdhsa_accum_offset 108
		.amdhsa_reserve_vcc 1
		.amdhsa_float_round_mode_32 0
		.amdhsa_float_round_mode_16_64 0
		.amdhsa_float_denorm_mode_32 3
		.amdhsa_float_denorm_mode_16_64 3
		.amdhsa_dx10_clamp 1
		.amdhsa_ieee_mode 1
		.amdhsa_fp16_overflow 0
		.amdhsa_tg_split 0
		.amdhsa_exception_fp_ieee_invalid_op 0
		.amdhsa_exception_fp_denorm_src 0
		.amdhsa_exception_fp_ieee_div_zero 0
		.amdhsa_exception_fp_ieee_overflow 0
		.amdhsa_exception_fp_ieee_underflow 0
		.amdhsa_exception_fp_ieee_inexact 0
		.amdhsa_exception_int_div_zero 0
	.end_amdhsa_kernel
	.text
.Lfunc_end0:
	.size	fft_rtc_back_len96_factors_6_16_wgs_128_tpt_16_dp_op_CI_CI_unitstride_sbrr_C2R_dirReg, .Lfunc_end0-fft_rtc_back_len96_factors_6_16_wgs_128_tpt_16_dp_op_CI_CI_unitstride_sbrr_C2R_dirReg
                                        ; -- End function
	.section	.AMDGPU.csdata,"",@progbits
; Kernel info:
; codeLenInByte = 4968
; NumSgprs: 34
; NumVgprs: 107
; NumAgprs: 0
; TotalNumVgprs: 107
; ScratchSize: 0
; MemoryBound: 0
; FloatMode: 240
; IeeeMode: 1
; LDSByteSize: 0 bytes/workgroup (compile time only)
; SGPRBlocks: 4
; VGPRBlocks: 13
; NumSGPRsForWavesPerEU: 34
; NumVGPRsForWavesPerEU: 107
; AccumOffset: 108
; Occupancy: 4
; WaveLimiterHint : 1
; COMPUTE_PGM_RSRC2:SCRATCH_EN: 0
; COMPUTE_PGM_RSRC2:USER_SGPR: 2
; COMPUTE_PGM_RSRC2:TRAP_HANDLER: 0
; COMPUTE_PGM_RSRC2:TGID_X_EN: 1
; COMPUTE_PGM_RSRC2:TGID_Y_EN: 0
; COMPUTE_PGM_RSRC2:TGID_Z_EN: 0
; COMPUTE_PGM_RSRC2:TIDIG_COMP_CNT: 0
; COMPUTE_PGM_RSRC3_GFX90A:ACCUM_OFFSET: 26
; COMPUTE_PGM_RSRC3_GFX90A:TG_SPLIT: 0
	.text
	.p2alignl 6, 3212836864
	.fill 256, 4, 3212836864
	.type	__hip_cuid_f12617713e168b61,@object ; @__hip_cuid_f12617713e168b61
	.section	.bss,"aw",@nobits
	.globl	__hip_cuid_f12617713e168b61
__hip_cuid_f12617713e168b61:
	.byte	0                               ; 0x0
	.size	__hip_cuid_f12617713e168b61, 1

	.ident	"AMD clang version 19.0.0git (https://github.com/RadeonOpenCompute/llvm-project roc-6.4.0 25133 c7fe45cf4b819c5991fe208aaa96edf142730f1d)"
	.section	".note.GNU-stack","",@progbits
	.addrsig
	.addrsig_sym __hip_cuid_f12617713e168b61
	.amdgpu_metadata
---
amdhsa.kernels:
  - .agpr_count:     0
    .args:
      - .actual_access:  read_only
        .address_space:  global
        .offset:         0
        .size:           8
        .value_kind:     global_buffer
      - .offset:         8
        .size:           8
        .value_kind:     by_value
      - .actual_access:  read_only
        .address_space:  global
        .offset:         16
        .size:           8
        .value_kind:     global_buffer
      - .actual_access:  read_only
        .address_space:  global
        .offset:         24
        .size:           8
        .value_kind:     global_buffer
      - .actual_access:  read_only
        .address_space:  global
        .offset:         32
        .size:           8
        .value_kind:     global_buffer
      - .offset:         40
        .size:           8
        .value_kind:     by_value
      - .actual_access:  read_only
        .address_space:  global
        .offset:         48
        .size:           8
        .value_kind:     global_buffer
      - .actual_access:  read_only
        .address_space:  global
        .offset:         56
        .size:           8
        .value_kind:     global_buffer
      - .offset:         64
        .size:           4
        .value_kind:     by_value
      - .actual_access:  read_only
        .address_space:  global
        .offset:         72
        .size:           8
        .value_kind:     global_buffer
      - .actual_access:  read_only
        .address_space:  global
        .offset:         80
        .size:           8
        .value_kind:     global_buffer
      - .actual_access:  read_only
        .address_space:  global
        .offset:         88
        .size:           8
        .value_kind:     global_buffer
      - .actual_access:  write_only
        .address_space:  global
        .offset:         96
        .size:           8
        .value_kind:     global_buffer
    .group_segment_fixed_size: 0
    .kernarg_segment_align: 8
    .kernarg_segment_size: 104
    .language:       OpenCL C
    .language_version:
      - 2
      - 0
    .max_flat_workgroup_size: 128
    .name:           fft_rtc_back_len96_factors_6_16_wgs_128_tpt_16_dp_op_CI_CI_unitstride_sbrr_C2R_dirReg
    .private_segment_fixed_size: 0
    .sgpr_count:     34
    .sgpr_spill_count: 0
    .symbol:         fft_rtc_back_len96_factors_6_16_wgs_128_tpt_16_dp_op_CI_CI_unitstride_sbrr_C2R_dirReg.kd
    .uniform_work_group_size: 1
    .uses_dynamic_stack: false
    .vgpr_count:     107
    .vgpr_spill_count: 0
    .wavefront_size: 64
amdhsa.target:   amdgcn-amd-amdhsa--gfx950
amdhsa.version:
  - 1
  - 2
...

	.end_amdgpu_metadata
